;; amdgpu-corpus repo=zjin-lcf/HeCBench kind=compiled arch=gfx1100 opt=O3
	.text
	.amdgcn_target "amdgcn-amd-amdhsa--gfx1100"
	.amdhsa_code_object_version 6
	.section	.text._Z20RowwiseMomentsKernelIfEvlT_PKS0_PS0_S3_,"axG",@progbits,_Z20RowwiseMomentsKernelIfEvlT_PKS0_PS0_S3_,comdat
	.protected	_Z20RowwiseMomentsKernelIfEvlT_PKS0_PS0_S3_ ; -- Begin function _Z20RowwiseMomentsKernelIfEvlT_PKS0_PS0_S3_
	.globl	_Z20RowwiseMomentsKernelIfEvlT_PKS0_PS0_S3_
	.p2align	8
	.type	_Z20RowwiseMomentsKernelIfEvlT_PKS0_PS0_S3_,@function
_Z20RowwiseMomentsKernelIfEvlT_PKS0_PS0_S3_: ; @_Z20RowwiseMomentsKernelIfEvlT_PKS0_PS0_S3_
; %bb.0:
	s_clause 0x2
	s_load_b64 s[12:13], s[0:1], 0x0
	s_load_b128 s[4:7], s[0:1], 0x10
	s_load_b64 s[8:9], s[0:1], 0x20
	v_dual_mov_b32 v1, 0 :: v_dual_mov_b32 v4, 0
	v_mov_b32_e32 v5, 0
	s_mov_b32 s10, s15
	s_mov_b32 s11, 0
	s_delay_alu instid0(VALU_DEP_2)
	v_mov_b32_e32 v2, v1
	v_mov_b32_e32 v3, v1
	s_mov_b32 s3, exec_lo
	s_waitcnt lgkmcnt(0)
	v_cmpx_gt_i64_e64 s[12:13], v[0:1]
	s_cbranch_execz .LBB0_4
; %bb.1:
	s_load_b32 s2, s[0:1], 0x34
	s_mul_i32 s15, s13, s10
	s_mul_hi_u32 s16, s12, s10
	s_mul_i32 s14, s12, s10
	s_add_i32 s15, s16, s15
	v_dual_mov_b32 v3, 0 :: v_dual_lshlrev_b32 v2, 2, v0
	s_lshl_b64 s[16:17], s[14:15], 2
	v_dual_mov_b32 v7, v1 :: v_dual_mov_b32 v6, v0
	s_waitcnt lgkmcnt(0)
	s_and_b32 s14, s2, 0xffff
	s_add_u32 s2, s4, s16
	s_addc_u32 s4, s5, s17
	v_add_co_u32 v8, s2, s2, v2
	s_delay_alu instid0(VALU_DEP_1)
	v_add_co_ci_u32_e64 v9, null, s4, 0, s2
	v_mov_b32_e32 v2, 0
	s_lshl_b32 s15, s14, 2
	s_mov_b64 s[4:5], 0
	s_mov_b32 s16, s11
	s_set_inst_prefetch_distance 0x1
	.p2align	6
.LBB0_2:                                ; =>This Inner Loop Header: Depth=1
	global_load_b32 v4, v[8:9], off
	s_add_u32 s4, s4, 1
	s_addc_u32 s5, s5, 0
	s_delay_alu instid0(SALU_CYCLE_1) | instskip(NEXT) | instid1(SALU_CYCLE_1)
	s_clz_i32_u32 s2, s5
	s_min_u32 s2, s2, 32
	s_delay_alu instid0(SALU_CYCLE_1) | instskip(SKIP_2) | instid1(SALU_CYCLE_1)
	s_lshl_b64 s[18:19], s[4:5], s2
	s_sub_i32 s2, 32, s2
	s_min_u32 s17, s18, 1
	s_or_b32 s17, s19, s17
	s_delay_alu instid0(SALU_CYCLE_1) | instskip(NEXT) | instid1(VALU_DEP_1)
	v_cvt_f32_u32_e32 v1, s17
	v_ldexp_f32 v1, v1, s2
	s_waitcnt vmcnt(0)
	v_sub_f32_e32 v10, v4, v2
	s_delay_alu instid0(VALU_DEP_1) | instskip(SKIP_1) | instid1(VALU_DEP_2)
	v_div_scale_f32 v5, null, v1, v1, v10
	v_div_scale_f32 v13, vcc_lo, v10, v1, v10
	v_rcp_f32_e32 v11, v5
	s_waitcnt_depctr 0xfff
	v_fma_f32 v12, -v5, v11, 1.0
	s_delay_alu instid0(VALU_DEP_1) | instskip(NEXT) | instid1(VALU_DEP_1)
	v_fmac_f32_e32 v11, v12, v11
	v_mul_f32_e32 v12, v13, v11
	s_delay_alu instid0(VALU_DEP_1) | instskip(NEXT) | instid1(VALU_DEP_1)
	v_fma_f32 v14, -v5, v12, v13
	v_fmac_f32_e32 v12, v14, v11
	s_delay_alu instid0(VALU_DEP_1) | instskip(NEXT) | instid1(VALU_DEP_1)
	v_fma_f32 v5, -v5, v12, v13
	v_div_fmas_f32 v5, v5, v11, v12
	v_add_co_u32 v6, vcc_lo, v6, s14
	v_add_co_ci_u32_e32 v7, vcc_lo, 0, v7, vcc_lo
	s_delay_alu instid0(VALU_DEP_3) | instskip(SKIP_1) | instid1(VALU_DEP_3)
	v_div_fixup_f32 v5, v5, v1, v10
	v_add_co_u32 v8, vcc_lo, v8, s15
	v_cmp_le_i64_e64 s2, s[12:13], v[6:7]
	v_add_co_ci_u32_e32 v9, vcc_lo, 0, v9, vcc_lo
	s_delay_alu instid0(VALU_DEP_4) | instskip(NEXT) | instid1(VALU_DEP_3)
	v_add_f32_e32 v2, v2, v5
	s_or_b32 s16, s2, s16
	s_delay_alu instid0(VALU_DEP_1) | instskip(SKIP_1) | instid1(VALU_DEP_2)
	v_dual_sub_f32 v11, v4, v2 :: v_dual_mov_b32 v4, s4
	v_mov_b32_e32 v5, s5
	v_fmac_f32_e32 v3, v10, v11
	s_and_not1_b32 exec_lo, exec_lo, s16
	s_cbranch_execnz .LBB0_2
; %bb.3:
	s_set_inst_prefetch_distance 0x2
	s_or_b32 exec_lo, exec_lo, s16
.LBB0_4:
	s_delay_alu instid0(SALU_CYCLE_1) | instskip(SKIP_2) | instid1(VALU_DEP_1)
	s_or_b32 exec_lo, exec_lo, s3
	v_mbcnt_lo_u32_b32 v12, -1, 0
	s_mov_b32 s2, exec_lo
	v_cmp_gt_u32_e32 vcc_lo, 16, v12
	v_cndmask_b32_e64 v6, 0, 1, vcc_lo
	s_delay_alu instid0(VALU_DEP_1) | instskip(NEXT) | instid1(VALU_DEP_1)
	v_lshlrev_b32_e32 v6, 4, v6
	v_add_lshl_u32 v8, v6, v12, 2
	ds_bpermute_b32 v11, v8, v2
	ds_bpermute_b32 v9, v8, v3
	;; [unrolled: 1-line block ×5, first 2 shown]
	v_cmpx_neq_f32_e32 0, v1
	s_xor_b32 s2, exec_lo, s2
	s_cbranch_execz .LBB0_8
; %bb.5:
	s_mov_b32 s3, exec_lo
	s_waitcnt lgkmcnt(0)
	v_cmpx_neq_f32_e32 0, v10
	s_cbranch_execz .LBB0_7
; %bb.6:
	v_add_f32_e32 v6, v1, v10
	v_sub_f32_e32 v11, v11, v2
	v_add_f32_e32 v3, v3, v9
	s_delay_alu instid0(VALU_DEP_3) | instskip(NEXT) | instid1(VALU_DEP_1)
	v_div_scale_f32 v4, null, v6, v6, v10
	v_rcp_f32_e32 v5, v4
	s_waitcnt_depctr 0xfff
	v_fma_f32 v7, -v4, v5, 1.0
	s_delay_alu instid0(VALU_DEP_1) | instskip(SKIP_1) | instid1(VALU_DEP_1)
	v_fmac_f32_e32 v5, v7, v5
	v_div_scale_f32 v13, vcc_lo, v10, v6, v10
	v_mul_f32_e32 v7, v13, v5
	s_delay_alu instid0(VALU_DEP_1) | instskip(NEXT) | instid1(VALU_DEP_1)
	v_fma_f32 v14, -v4, v7, v13
	v_fmac_f32_e32 v7, v14, v5
	s_delay_alu instid0(VALU_DEP_1) | instskip(NEXT) | instid1(VALU_DEP_1)
	v_fma_f32 v4, -v4, v7, v13
	v_div_fmas_f32 v4, v4, v5, v7
	v_mul_f32_e32 v5, v11, v11
	s_delay_alu instid0(VALU_DEP_2) | instskip(NEXT) | instid1(VALU_DEP_2)
	v_div_fixup_f32 v7, v4, v6, v10
	v_dual_mul_f32 v1, v1, v5 :: v_dual_mov_b32 v4, -1
	s_delay_alu instid0(VALU_DEP_2) | instskip(NEXT) | instid1(VALU_DEP_2)
	v_dual_mov_b32 v5, -1 :: v_dual_fmac_f32 v2, v11, v7
	v_fmac_f32_e32 v3, v1, v7
	v_mov_b32_e32 v1, v6
.LBB0_7:
	s_or_b32 exec_lo, exec_lo, s3
                                        ; implicit-def: $vgpr6
                                        ; implicit-def: $vgpr10
                                        ; implicit-def: $vgpr9
                                        ; implicit-def: $vgpr11
.LBB0_8:
	s_and_not1_saveexec_b32 s2, s2
	s_cbranch_execz .LBB0_10
; %bb.9:
	s_waitcnt lgkmcnt(0)
	v_dual_mov_b32 v1, v10 :: v_dual_mov_b32 v2, v11
	v_dual_mov_b32 v4, v6 :: v_dual_mov_b32 v5, v7
	v_mov_b32_e32 v3, v9
.LBB0_10:
	s_or_b32 exec_lo, exec_lo, s2
	v_cmp_gt_u32_e32 vcc_lo, 24, v12
	s_mov_b32 s2, exec_lo
	s_waitcnt lgkmcnt(2)
	v_cndmask_b32_e64 v6, 0, 1, vcc_lo
	s_delay_alu instid0(VALU_DEP_1) | instskip(NEXT) | instid1(VALU_DEP_1)
	v_lshlrev_b32_e32 v6, 3, v6
	v_add_lshl_u32 v9, v6, v12, 2
	ds_bpermute_b32 v13, v9, v2
	s_waitcnt lgkmcnt(1)
	ds_bpermute_b32 v10, v9, v3
	ds_bpermute_b32 v6, v9, v4
	;; [unrolled: 1-line block ×4, first 2 shown]
	v_cmpx_neq_f32_e32 0, v1
	s_xor_b32 s2, exec_lo, s2
	s_cbranch_execz .LBB0_14
; %bb.11:
	s_mov_b32 s3, exec_lo
	s_waitcnt lgkmcnt(0)
	v_cmpx_neq_f32_e32 0, v11
	s_cbranch_execz .LBB0_13
; %bb.12:
	v_add_f32_e32 v6, v1, v11
	v_sub_f32_e32 v13, v13, v2
	s_delay_alu instid0(VALU_DEP_2) | instskip(NEXT) | instid1(VALU_DEP_1)
	v_div_scale_f32 v4, null, v6, v6, v11
	v_rcp_f32_e32 v5, v4
	s_waitcnt_depctr 0xfff
	v_fma_f32 v7, -v4, v5, 1.0
	s_delay_alu instid0(VALU_DEP_1) | instskip(SKIP_1) | instid1(VALU_DEP_1)
	v_fmac_f32_e32 v5, v7, v5
	v_div_scale_f32 v14, vcc_lo, v11, v6, v11
	v_mul_f32_e32 v7, v14, v5
	s_delay_alu instid0(VALU_DEP_1) | instskip(NEXT) | instid1(VALU_DEP_1)
	v_fma_f32 v15, -v4, v7, v14
	v_fmac_f32_e32 v7, v15, v5
	s_delay_alu instid0(VALU_DEP_1) | instskip(NEXT) | instid1(VALU_DEP_1)
	v_fma_f32 v4, -v4, v7, v14
	v_div_fmas_f32 v4, v4, v5, v7
	v_mul_f32_e32 v5, v13, v13
	s_delay_alu instid0(VALU_DEP_2) | instskip(SKIP_1) | instid1(VALU_DEP_3)
	v_div_fixup_f32 v7, v4, v6, v11
	v_add_f32_e32 v3, v3, v10
	v_dual_mul_f32 v1, v1, v5 :: v_dual_mov_b32 v4, -1
	s_delay_alu instid0(VALU_DEP_3) | instskip(NEXT) | instid1(VALU_DEP_2)
	v_dual_mov_b32 v5, -1 :: v_dual_fmac_f32 v2, v13, v7
	v_fmac_f32_e32 v3, v1, v7
	v_mov_b32_e32 v1, v6
.LBB0_13:
	s_or_b32 exec_lo, exec_lo, s3
                                        ; implicit-def: $vgpr6
                                        ; implicit-def: $vgpr11
                                        ; implicit-def: $vgpr10
                                        ; implicit-def: $vgpr13
.LBB0_14:
	s_and_not1_saveexec_b32 s2, s2
	s_cbranch_execz .LBB0_16
; %bb.15:
	s_waitcnt lgkmcnt(0)
	v_dual_mov_b32 v1, v11 :: v_dual_mov_b32 v4, v6
	v_dual_mov_b32 v5, v7 :: v_dual_mov_b32 v2, v13
	v_mov_b32_e32 v3, v10
.LBB0_16:
	s_or_b32 exec_lo, exec_lo, s2
	v_cmp_gt_u32_e32 vcc_lo, 28, v12
	s_mov_b32 s2, exec_lo
	s_waitcnt lgkmcnt(2)
	v_cndmask_b32_e64 v6, 0, 1, vcc_lo
	s_delay_alu instid0(VALU_DEP_1) | instskip(NEXT) | instid1(VALU_DEP_1)
	v_lshlrev_b32_e32 v6, 2, v6
	v_add_lshl_u32 v10, v6, v12, 2
	ds_bpermute_b32 v14, v10, v2
	s_waitcnt lgkmcnt(1)
	ds_bpermute_b32 v11, v10, v3
	ds_bpermute_b32 v6, v10, v4
	ds_bpermute_b32 v7, v10, v5
	ds_bpermute_b32 v13, v10, v1
	v_cmpx_neq_f32_e32 0, v1
	s_xor_b32 s2, exec_lo, s2
	s_cbranch_execz .LBB0_20
; %bb.17:
	s_mov_b32 s3, exec_lo
	s_waitcnt lgkmcnt(0)
	v_cmpx_neq_f32_e32 0, v13
	s_cbranch_execz .LBB0_19
; %bb.18:
	v_dual_sub_f32 v14, v14, v2 :: v_dual_add_f32 v3, v3, v11
	v_add_f32_e32 v6, v1, v13
	s_delay_alu instid0(VALU_DEP_1) | instskip(SKIP_1) | instid1(VALU_DEP_2)
	v_div_scale_f32 v4, null, v6, v6, v13
	v_div_scale_f32 v15, vcc_lo, v13, v6, v13
	v_rcp_f32_e32 v5, v4
	s_waitcnt_depctr 0xfff
	v_fma_f32 v7, -v4, v5, 1.0
	s_delay_alu instid0(VALU_DEP_1) | instskip(NEXT) | instid1(VALU_DEP_1)
	v_fmac_f32_e32 v5, v7, v5
	v_mul_f32_e32 v7, v15, v5
	s_delay_alu instid0(VALU_DEP_1) | instskip(NEXT) | instid1(VALU_DEP_1)
	v_fma_f32 v16, -v4, v7, v15
	v_fmac_f32_e32 v7, v16, v5
	s_delay_alu instid0(VALU_DEP_1) | instskip(NEXT) | instid1(VALU_DEP_1)
	v_fma_f32 v4, -v4, v7, v15
	v_div_fmas_f32 v4, v4, v5, v7
	v_mul_f32_e32 v5, v14, v14
	s_delay_alu instid0(VALU_DEP_2) | instskip(NEXT) | instid1(VALU_DEP_2)
	v_div_fixup_f32 v7, v4, v6, v13
	v_dual_mul_f32 v1, v1, v5 :: v_dual_mov_b32 v4, -1
	s_delay_alu instid0(VALU_DEP_2) | instskip(NEXT) | instid1(VALU_DEP_2)
	v_dual_mov_b32 v5, -1 :: v_dual_fmac_f32 v2, v14, v7
	v_fmac_f32_e32 v3, v1, v7
	v_mov_b32_e32 v1, v6
.LBB0_19:
	s_or_b32 exec_lo, exec_lo, s3
                                        ; implicit-def: $vgpr6
                                        ; implicit-def: $vgpr13
                                        ; implicit-def: $vgpr11
                                        ; implicit-def: $vgpr14
.LBB0_20:
	s_and_not1_saveexec_b32 s2, s2
	s_cbranch_execz .LBB0_22
; %bb.21:
	s_waitcnt lgkmcnt(0)
	v_dual_mov_b32 v1, v13 :: v_dual_mov_b32 v4, v6
	v_dual_mov_b32 v5, v7 :: v_dual_mov_b32 v2, v14
	v_mov_b32_e32 v3, v11
.LBB0_22:
	s_or_b32 exec_lo, exec_lo, s2
	v_cmp_gt_u32_e32 vcc_lo, 30, v12
	s_mov_b32 s2, exec_lo
	s_waitcnt lgkmcnt(2)
	v_cndmask_b32_e64 v6, 0, 1, vcc_lo
	s_delay_alu instid0(VALU_DEP_1) | instskip(NEXT) | instid1(VALU_DEP_1)
	v_lshlrev_b32_e32 v6, 1, v6
	v_add_lshl_u32 v11, v6, v12, 2
	ds_bpermute_b32 v15, v11, v2
	s_waitcnt lgkmcnt(1)
	ds_bpermute_b32 v13, v11, v3
	ds_bpermute_b32 v6, v11, v4
	;; [unrolled: 1-line block ×4, first 2 shown]
	v_cmpx_neq_f32_e32 0, v1
	s_xor_b32 s2, exec_lo, s2
	s_cbranch_execz .LBB0_26
; %bb.23:
	s_mov_b32 s3, exec_lo
	s_waitcnt lgkmcnt(0)
	v_cmpx_neq_f32_e32 0, v14
	s_cbranch_execz .LBB0_25
; %bb.24:
	v_add_f32_e32 v6, v1, v14
	v_sub_f32_e32 v15, v15, v2
	v_add_f32_e32 v3, v3, v13
	s_delay_alu instid0(VALU_DEP_3) | instskip(NEXT) | instid1(VALU_DEP_1)
	v_div_scale_f32 v4, null, v6, v6, v14
	v_rcp_f32_e32 v5, v4
	s_waitcnt_depctr 0xfff
	v_fma_f32 v7, -v4, v5, 1.0
	s_delay_alu instid0(VALU_DEP_1) | instskip(SKIP_1) | instid1(VALU_DEP_1)
	v_fmac_f32_e32 v5, v7, v5
	v_div_scale_f32 v16, vcc_lo, v14, v6, v14
	v_mul_f32_e32 v7, v16, v5
	s_delay_alu instid0(VALU_DEP_1) | instskip(NEXT) | instid1(VALU_DEP_1)
	v_fma_f32 v17, -v4, v7, v16
	v_fmac_f32_e32 v7, v17, v5
	s_delay_alu instid0(VALU_DEP_1) | instskip(NEXT) | instid1(VALU_DEP_1)
	v_fma_f32 v4, -v4, v7, v16
	v_div_fmas_f32 v4, v4, v5, v7
	v_mul_f32_e32 v5, v15, v15
	s_delay_alu instid0(VALU_DEP_2) | instskip(NEXT) | instid1(VALU_DEP_2)
	v_div_fixup_f32 v7, v4, v6, v14
	v_dual_mul_f32 v1, v1, v5 :: v_dual_mov_b32 v4, -1
	s_delay_alu instid0(VALU_DEP_2) | instskip(NEXT) | instid1(VALU_DEP_2)
	v_dual_mov_b32 v5, -1 :: v_dual_fmac_f32 v2, v15, v7
	v_fmac_f32_e32 v3, v1, v7
	v_mov_b32_e32 v1, v6
.LBB0_25:
	s_or_b32 exec_lo, exec_lo, s3
                                        ; implicit-def: $vgpr6
                                        ; implicit-def: $vgpr14
                                        ; implicit-def: $vgpr13
                                        ; implicit-def: $vgpr15
.LBB0_26:
	s_and_not1_saveexec_b32 s2, s2
	s_cbranch_execz .LBB0_28
; %bb.27:
	s_waitcnt lgkmcnt(0)
	v_dual_mov_b32 v1, v14 :: v_dual_mov_b32 v2, v15
	v_dual_mov_b32 v4, v6 :: v_dual_mov_b32 v5, v7
	v_mov_b32_e32 v3, v13
.LBB0_28:
	s_or_b32 exec_lo, exec_lo, s2
	v_cmp_ne_u32_e32 vcc_lo, 31, v12
	s_mov_b32 s2, exec_lo
	s_waitcnt lgkmcnt(2)
	v_add_co_ci_u32_e32 v6, vcc_lo, 0, v12, vcc_lo
	s_delay_alu instid0(VALU_DEP_1)
	v_lshlrev_b32_e32 v12, 2, v6
	ds_bpermute_b32 v15, v12, v2
	ds_bpermute_b32 v13, v12, v3
	;; [unrolled: 1-line block ×3, first 2 shown]
	s_waitcnt lgkmcnt(4)
	ds_bpermute_b32 v7, v12, v5
	s_waitcnt lgkmcnt(4)
	ds_bpermute_b32 v14, v12, v1
	v_cmpx_neq_f32_e32 0, v1
	s_xor_b32 s2, exec_lo, s2
	s_cbranch_execz .LBB0_32
; %bb.29:
	s_mov_b32 s3, exec_lo
	s_waitcnt lgkmcnt(0)
	v_cmpx_neq_f32_e32 0, v14
	s_cbranch_execz .LBB0_31
; %bb.30:
	v_add_f32_e32 v6, v1, v14
	v_sub_f32_e32 v15, v15, v2
	v_add_f32_e32 v3, v3, v13
	s_delay_alu instid0(VALU_DEP_3) | instskip(NEXT) | instid1(VALU_DEP_1)
	v_div_scale_f32 v4, null, v6, v6, v14
	v_rcp_f32_e32 v5, v4
	s_waitcnt_depctr 0xfff
	v_fma_f32 v7, -v4, v5, 1.0
	s_delay_alu instid0(VALU_DEP_1) | instskip(SKIP_1) | instid1(VALU_DEP_1)
	v_fmac_f32_e32 v5, v7, v5
	v_div_scale_f32 v16, vcc_lo, v14, v6, v14
	v_mul_f32_e32 v7, v16, v5
	s_delay_alu instid0(VALU_DEP_1) | instskip(NEXT) | instid1(VALU_DEP_1)
	v_fma_f32 v17, -v4, v7, v16
	v_fmac_f32_e32 v7, v17, v5
	s_delay_alu instid0(VALU_DEP_1) | instskip(NEXT) | instid1(VALU_DEP_1)
	v_fma_f32 v4, -v4, v7, v16
	v_div_fmas_f32 v4, v4, v5, v7
	v_mul_f32_e32 v5, v15, v15
	s_delay_alu instid0(VALU_DEP_2) | instskip(NEXT) | instid1(VALU_DEP_2)
	v_div_fixup_f32 v7, v4, v6, v14
	v_dual_mul_f32 v1, v1, v5 :: v_dual_mov_b32 v4, -1
	s_delay_alu instid0(VALU_DEP_2) | instskip(NEXT) | instid1(VALU_DEP_2)
	v_dual_mov_b32 v5, -1 :: v_dual_fmac_f32 v2, v15, v7
	v_fmac_f32_e32 v3, v1, v7
	v_mov_b32_e32 v1, v6
.LBB0_31:
	s_or_b32 exec_lo, exec_lo, s3
                                        ; implicit-def: $vgpr6
                                        ; implicit-def: $vgpr14
                                        ; implicit-def: $vgpr13
                                        ; implicit-def: $vgpr15
.LBB0_32:
	s_and_not1_saveexec_b32 s2, s2
	s_cbranch_execz .LBB0_34
; %bb.33:
	s_waitcnt lgkmcnt(0)
	v_dual_mov_b32 v1, v14 :: v_dual_mov_b32 v2, v15
	v_dual_mov_b32 v4, v6 :: v_dual_mov_b32 v5, v7
	v_mov_b32_e32 v3, v13
.LBB0_34:
	s_or_b32 exec_lo, exec_lo, s2
	s_waitcnt lgkmcnt(2)
	v_and_b32_e32 v6, 31, v0
	s_mov_b32 s2, exec_lo
	s_waitcnt lgkmcnt(0)
	s_barrier
	buffer_gl0_inv
	v_cmpx_eq_u32_e32 0, v6
	s_cbranch_execz .LBB0_36
; %bb.35:
	v_lshrrev_b32_e32 v7, 5, v0
	s_delay_alu instid0(VALU_DEP_1)
	v_mul_u32_u24_e32 v7, 24, v7
	ds_store_2addr_b64 v7, v[2:3], v[4:5] offset1:1
	ds_store_b32 v7, v1 offset:16
.LBB0_36:
	s_or_b32 exec_lo, exec_lo, s2
	s_waitcnt lgkmcnt(0)
	s_barrier
	buffer_gl0_inv
	s_load_b32 s2, s[0:1], 0x34
	v_mul_u32_u24_e32 v4, 24, v6
	v_dual_mov_b32 v2, 0 :: v_dual_mov_b32 v1, 0
	s_waitcnt lgkmcnt(0)
	s_bfe_u32 s2, s2, 0xb0005
	s_delay_alu instid0(SALU_CYCLE_1)
	v_cmp_gt_u32_e32 vcc_lo, s2, v0
	s_and_saveexec_b32 s2, vcc_lo
	s_cbranch_execnz .LBB0_65
; %bb.37:
	s_or_b32 exec_lo, exec_lo, s2
	s_and_saveexec_b32 s2, vcc_lo
	s_cbranch_execnz .LBB0_66
.LBB0_38:
	s_or_b32 exec_lo, exec_lo, s2
	v_mov_b32_e32 v3, 0
	s_and_saveexec_b32 s2, vcc_lo
	s_cbranch_execz .LBB0_40
.LBB0_39:
	ds_load_b32 v3, v4 offset:16
.LBB0_40:
	s_or_b32 exec_lo, exec_lo, s2
	s_delay_alu instid0(SALU_CYCLE_1)
	s_mov_b32 s2, exec_lo
	v_cmpx_gt_u32_e32 32, v0
	s_cbranch_execz .LBB0_62
; %bb.41:
	s_waitcnt lgkmcnt(0)
	ds_bpermute_b32 v6, v8, v1
	ds_bpermute_b32 v4, v8, v2
	ds_bpermute_b32 v5, v8, v3
	s_mov_b32 s3, exec_lo
	v_cmpx_neq_f32_e32 0, v3
	s_cbranch_execz .LBB0_45
; %bb.42:
	s_mov_b32 s4, exec_lo
	s_waitcnt lgkmcnt(0)
	v_cmpx_neq_f32_e32 0, v5
	s_cbranch_execz .LBB0_44
; %bb.43:
	v_dual_add_f32 v7, v3, v5 :: v_dual_add_f32 v2, v2, v4
	v_sub_f32_e32 v6, v6, v1
	s_delay_alu instid0(VALU_DEP_2) | instskip(SKIP_1) | instid1(VALU_DEP_2)
	v_div_scale_f32 v8, null, v7, v7, v5
	v_div_scale_f32 v15, vcc_lo, v5, v7, v5
	v_rcp_f32_e32 v13, v8
	s_waitcnt_depctr 0xfff
	v_fma_f32 v14, -v8, v13, 1.0
	s_delay_alu instid0(VALU_DEP_1) | instskip(NEXT) | instid1(VALU_DEP_1)
	v_fmac_f32_e32 v13, v14, v13
	v_mul_f32_e32 v14, v15, v13
	s_delay_alu instid0(VALU_DEP_1) | instskip(NEXT) | instid1(VALU_DEP_1)
	v_fma_f32 v16, -v8, v14, v15
	v_fmac_f32_e32 v14, v16, v13
	s_delay_alu instid0(VALU_DEP_1) | instskip(NEXT) | instid1(VALU_DEP_1)
	v_fma_f32 v8, -v8, v14, v15
	v_div_fmas_f32 v8, v8, v13, v14
	v_mul_f32_e32 v13, v6, v6
	s_delay_alu instid0(VALU_DEP_2) | instskip(NEXT) | instid1(VALU_DEP_2)
	v_div_fixup_f32 v4, v8, v7, v5
	v_mul_f32_e32 v3, v3, v13
	s_delay_alu instid0(VALU_DEP_1)
	v_fmac_f32_e32 v2, v3, v4
	v_mov_b32_e32 v3, v7
	v_fmac_f32_e32 v1, v6, v4
.LBB0_44:
	s_or_b32 exec_lo, exec_lo, s4
	s_delay_alu instid0(VALU_DEP_2) | instskip(NEXT) | instid1(VALU_DEP_2)
	v_dual_mov_b32 v5, v3 :: v_dual_mov_b32 v4, v2
	v_mov_b32_e32 v6, v1
.LBB0_45:
	s_or_b32 exec_lo, exec_lo, s3
	s_waitcnt lgkmcnt(2)
	ds_bpermute_b32 v7, v9, v6
	s_waitcnt lgkmcnt(2)
	ds_bpermute_b32 v1, v9, v4
	;; [unrolled: 2-line block ×3, first 2 shown]
	s_mov_b32 s3, exec_lo
	v_cmpx_neq_f32_e32 0, v5
	s_cbranch_execz .LBB0_49
; %bb.46:
	s_mov_b32 s4, exec_lo
	s_waitcnt lgkmcnt(0)
	v_cmpx_neq_f32_e32 0, v3
	s_cbranch_execz .LBB0_48
; %bb.47:
	v_dual_add_f32 v2, v5, v3 :: v_dual_sub_f32 v7, v7, v6
	v_add_f32_e32 v4, v4, v1
	s_delay_alu instid0(VALU_DEP_2) | instskip(SKIP_1) | instid1(VALU_DEP_2)
	v_div_scale_f32 v8, null, v2, v2, v3
	v_div_scale_f32 v14, vcc_lo, v3, v2, v3
	v_rcp_f32_e32 v9, v8
	s_waitcnt_depctr 0xfff
	v_fma_f32 v13, -v8, v9, 1.0
	s_delay_alu instid0(VALU_DEP_1) | instskip(NEXT) | instid1(VALU_DEP_1)
	v_fmac_f32_e32 v9, v13, v9
	v_mul_f32_e32 v13, v14, v9
	s_delay_alu instid0(VALU_DEP_1) | instskip(NEXT) | instid1(VALU_DEP_1)
	v_fma_f32 v15, -v8, v13, v14
	v_fmac_f32_e32 v13, v15, v9
	s_delay_alu instid0(VALU_DEP_1) | instskip(NEXT) | instid1(VALU_DEP_1)
	v_fma_f32 v8, -v8, v13, v14
	v_div_fmas_f32 v8, v8, v9, v13
	v_mul_f32_e32 v9, v7, v7
	s_delay_alu instid0(VALU_DEP_2) | instskip(NEXT) | instid1(VALU_DEP_2)
	v_div_fixup_f32 v1, v8, v2, v3
	v_mul_f32_e32 v3, v5, v9
	s_delay_alu instid0(VALU_DEP_2) | instskip(NEXT) | instid1(VALU_DEP_2)
	v_dual_mov_b32 v5, v2 :: v_dual_fmac_f32 v6, v7, v1
	v_fmac_f32_e32 v4, v3, v1
.LBB0_48:
	s_or_b32 exec_lo, exec_lo, s4
	s_delay_alu instid0(VALU_DEP_2) | instskip(NEXT) | instid1(VALU_DEP_2)
	v_mov_b32_e32 v3, v5
	v_mov_b32_e32 v1, v4
	;; [unrolled: 1-line block ×3, first 2 shown]
.LBB0_49:
	s_or_b32 exec_lo, exec_lo, s3
	s_waitcnt lgkmcnt(2)
	ds_bpermute_b32 v8, v10, v7
	s_waitcnt lgkmcnt(2)
	ds_bpermute_b32 v2, v10, v1
	;; [unrolled: 2-line block ×3, first 2 shown]
	s_mov_b32 s3, exec_lo
	v_cmpx_neq_f32_e32 0, v3
	s_cbranch_execz .LBB0_53
; %bb.50:
	s_mov_b32 s4, exec_lo
	s_waitcnt lgkmcnt(0)
	v_cmpx_neq_f32_e32 0, v6
	s_cbranch_execz .LBB0_52
; %bb.51:
	v_add_f32_e32 v4, v3, v6
	v_dual_sub_f32 v8, v8, v7 :: v_dual_add_f32 v1, v1, v2
	s_delay_alu instid0(VALU_DEP_2) | instskip(NEXT) | instid1(VALU_DEP_1)
	v_div_scale_f32 v5, null, v4, v4, v6
	v_rcp_f32_e32 v9, v5
	s_waitcnt_depctr 0xfff
	v_fma_f32 v10, -v5, v9, 1.0
	s_delay_alu instid0(VALU_DEP_1) | instskip(SKIP_1) | instid1(VALU_DEP_1)
	v_fmac_f32_e32 v9, v10, v9
	v_div_scale_f32 v13, vcc_lo, v6, v4, v6
	v_mul_f32_e32 v10, v13, v9
	s_delay_alu instid0(VALU_DEP_1) | instskip(NEXT) | instid1(VALU_DEP_1)
	v_fma_f32 v14, -v5, v10, v13
	v_fmac_f32_e32 v10, v14, v9
	s_delay_alu instid0(VALU_DEP_1) | instskip(NEXT) | instid1(VALU_DEP_1)
	v_fma_f32 v5, -v5, v10, v13
	v_div_fmas_f32 v5, v5, v9, v10
	v_mul_f32_e32 v9, v8, v8
	s_delay_alu instid0(VALU_DEP_2) | instskip(NEXT) | instid1(VALU_DEP_2)
	v_div_fixup_f32 v2, v5, v4, v6
	v_mul_f32_e32 v3, v3, v9
	s_delay_alu instid0(VALU_DEP_2) | instskip(NEXT) | instid1(VALU_DEP_2)
	v_fmac_f32_e32 v7, v8, v2
	v_fmac_f32_e32 v1, v3, v2
	v_mov_b32_e32 v3, v4
.LBB0_52:
	s_or_b32 exec_lo, exec_lo, s4
	s_delay_alu instid0(VALU_DEP_1) | instskip(NEXT) | instid1(VALU_DEP_3)
	v_mov_b32_e32 v6, v3
	v_mov_b32_e32 v2, v1
	v_mov_b32_e32 v8, v7
.LBB0_53:
	s_or_b32 exec_lo, exec_lo, s3
	s_waitcnt lgkmcnt(2)
	ds_bpermute_b32 v7, v11, v8
	s_waitcnt lgkmcnt(2)
	ds_bpermute_b32 v4, v11, v2
	;; [unrolled: 2-line block ×3, first 2 shown]
	s_mov_b32 s3, exec_lo
	v_cmpx_neq_f32_e32 0, v6
	s_cbranch_execz .LBB0_57
; %bb.54:
	s_mov_b32 s4, exec_lo
	s_waitcnt lgkmcnt(0)
	v_cmpx_neq_f32_e32 0, v5
	s_cbranch_execz .LBB0_56
; %bb.55:
	v_sub_f32_e32 v7, v7, v8
	v_add_f32_e32 v1, v6, v5
	v_add_f32_e32 v2, v2, v4
	s_delay_alu instid0(VALU_DEP_2) | instskip(SKIP_1) | instid1(VALU_DEP_2)
	v_div_scale_f32 v3, null, v1, v1, v5
	v_div_scale_f32 v11, vcc_lo, v5, v1, v5
	v_rcp_f32_e32 v9, v3
	s_waitcnt_depctr 0xfff
	v_fma_f32 v10, -v3, v9, 1.0
	s_delay_alu instid0(VALU_DEP_1) | instskip(NEXT) | instid1(VALU_DEP_1)
	v_fmac_f32_e32 v9, v10, v9
	v_mul_f32_e32 v10, v11, v9
	s_delay_alu instid0(VALU_DEP_1) | instskip(NEXT) | instid1(VALU_DEP_1)
	v_fma_f32 v13, -v3, v10, v11
	v_fmac_f32_e32 v10, v13, v9
	s_delay_alu instid0(VALU_DEP_1) | instskip(NEXT) | instid1(VALU_DEP_1)
	v_fma_f32 v3, -v3, v10, v11
	v_div_fmas_f32 v3, v3, v9, v10
	v_mul_f32_e32 v9, v7, v7
	s_delay_alu instid0(VALU_DEP_2) | instskip(NEXT) | instid1(VALU_DEP_2)
	v_div_fixup_f32 v3, v3, v1, v5
	v_mul_f32_e32 v4, v6, v9
	s_delay_alu instid0(VALU_DEP_2) | instskip(NEXT) | instid1(VALU_DEP_2)
	v_fmac_f32_e32 v8, v7, v3
	v_fmac_f32_e32 v2, v4, v3
	v_mov_b32_e32 v6, v1
.LBB0_56:
	s_or_b32 exec_lo, exec_lo, s4
	s_delay_alu instid0(VALU_DEP_1) | instskip(NEXT) | instid1(VALU_DEP_3)
	v_mov_b32_e32 v5, v6
	v_dual_mov_b32 v4, v2 :: v_dual_mov_b32 v7, v8
.LBB0_57:
	s_or_b32 exec_lo, exec_lo, s3
	s_waitcnt lgkmcnt(2)
	ds_bpermute_b32 v1, v12, v7
	s_waitcnt lgkmcnt(2)
	ds_bpermute_b32 v2, v12, v4
	;; [unrolled: 2-line block ×3, first 2 shown]
	s_mov_b32 s3, exec_lo
	v_cmpx_neq_f32_e32 0, v5
	s_cbranch_execz .LBB0_61
; %bb.58:
	s_mov_b32 s4, exec_lo
	s_waitcnt lgkmcnt(0)
	v_cmpx_neq_f32_e32 0, v3
	s_cbranch_execz .LBB0_60
; %bb.59:
	v_add_f32_e32 v6, v5, v3
	v_dual_sub_f32 v1, v1, v7 :: v_dual_add_f32 v4, v4, v2
	s_delay_alu instid0(VALU_DEP_2) | instskip(NEXT) | instid1(VALU_DEP_1)
	v_div_scale_f32 v8, null, v6, v6, v3
	v_rcp_f32_e32 v9, v8
	s_waitcnt_depctr 0xfff
	v_fma_f32 v10, -v8, v9, 1.0
	s_delay_alu instid0(VALU_DEP_1) | instskip(SKIP_1) | instid1(VALU_DEP_1)
	v_fmac_f32_e32 v9, v10, v9
	v_div_scale_f32 v11, vcc_lo, v3, v6, v3
	v_mul_f32_e32 v10, v11, v9
	s_delay_alu instid0(VALU_DEP_1) | instskip(NEXT) | instid1(VALU_DEP_1)
	v_fma_f32 v12, -v8, v10, v11
	v_fmac_f32_e32 v10, v12, v9
	s_delay_alu instid0(VALU_DEP_1) | instskip(NEXT) | instid1(VALU_DEP_1)
	v_fma_f32 v8, -v8, v10, v11
	v_div_fmas_f32 v8, v8, v9, v10
	v_mul_f32_e32 v9, v1, v1
	s_delay_alu instid0(VALU_DEP_2) | instskip(NEXT) | instid1(VALU_DEP_2)
	v_div_fixup_f32 v2, v8, v6, v3
	v_mul_f32_e32 v3, v5, v9
	v_mov_b32_e32 v5, v6
	s_delay_alu instid0(VALU_DEP_3) | instskip(NEXT) | instid1(VALU_DEP_3)
	v_fmac_f32_e32 v7, v1, v2
	v_fmac_f32_e32 v4, v3, v2
.LBB0_60:
	s_or_b32 exec_lo, exec_lo, s4
	s_delay_alu instid0(VALU_DEP_1) | instskip(NEXT) | instid1(VALU_DEP_3)
	v_dual_mov_b32 v3, v5 :: v_dual_mov_b32 v2, v4
	v_mov_b32_e32 v1, v7
.LBB0_61:
	s_or_b32 exec_lo, exec_lo, s3
.LBB0_62:
	s_delay_alu instid0(SALU_CYCLE_1) | instskip(NEXT) | instid1(SALU_CYCLE_1)
	s_or_b32 exec_lo, exec_lo, s2
	s_mov_b32 s2, exec_lo
	v_cmpx_eq_u32_e32 0, v0
	s_cbranch_execz .LBB0_64
; %bb.63:
	s_waitcnt lgkmcnt(0)
	v_max_f32_e32 v0, v3, v3
	s_load_b32 s0, s[0:1], 0x8
	s_delay_alu instid0(VALU_DEP_1) | instskip(NEXT) | instid1(VALU_DEP_1)
	v_max_f32_e32 v0, 0, v0
	v_div_scale_f32 v3, null, v0, v0, v2
	v_div_scale_f32 v6, vcc_lo, v2, v0, v2
	s_delay_alu instid0(VALU_DEP_2) | instskip(SKIP_2) | instid1(VALU_DEP_1)
	v_rcp_f32_e32 v4, v3
	s_waitcnt_depctr 0xfff
	v_fma_f32 v5, -v3, v4, 1.0
	v_fmac_f32_e32 v4, v5, v4
	s_delay_alu instid0(VALU_DEP_1) | instskip(NEXT) | instid1(VALU_DEP_1)
	v_mul_f32_e32 v5, v6, v4
	v_fma_f32 v7, -v3, v5, v6
	s_delay_alu instid0(VALU_DEP_1) | instskip(NEXT) | instid1(VALU_DEP_1)
	v_fmac_f32_e32 v5, v7, v4
	v_fma_f32 v3, -v3, v5, v6
	s_delay_alu instid0(VALU_DEP_1) | instskip(NEXT) | instid1(VALU_DEP_1)
	v_div_fmas_f32 v3, v3, v4, v5
	v_div_fixup_f32 v0, v3, v0, v2
	s_waitcnt lgkmcnt(0)
	s_delay_alu instid0(VALU_DEP_1) | instskip(SKIP_1) | instid1(SALU_CYCLE_1)
	v_add_f32_e32 v0, s0, v0
	s_lshl_b64 s[0:1], s[10:11], 2
	s_add_u32 s2, s8, s0
	s_addc_u32 s3, s9, s1
	s_delay_alu instid0(VALU_DEP_1) | instskip(SKIP_2) | instid1(VALU_DEP_1)
	v_cvt_f64_f32_e32 v[2:3], v0
	s_add_u32 s0, s6, s0
	s_addc_u32 s1, s7, s1
	v_rsq_f64_e32 v[4:5], v[2:3]
	s_waitcnt_depctr 0xfff
	v_mul_f64 v[2:3], v[4:5], -v[2:3]
	v_cmp_class_f64_e64 vcc_lo, v[4:5], 0x180
	s_delay_alu instid0(VALU_DEP_2) | instskip(NEXT) | instid1(VALU_DEP_1)
	v_fma_f64 v[2:3], v[2:3], v[4:5], 1.0
	v_mul_f64 v[6:7], v[4:5], v[2:3]
	v_fma_f64 v[2:3], 0x3fd80000, v[2:3], 0.5
	s_delay_alu instid0(VALU_DEP_1) | instskip(NEXT) | instid1(VALU_DEP_1)
	v_fma_f64 v[2:3], v[6:7], v[2:3], v[4:5]
	v_dual_cndmask_b32 v2, v4, v2 :: v_dual_cndmask_b32 v3, v5, v3
	s_delay_alu instid0(VALU_DEP_1)
	v_cvt_f32_f64_e32 v0, v[2:3]
	v_mov_b32_e32 v2, 0
	s_clause 0x1
	global_store_b32 v2, v0, s[2:3]
	global_store_b32 v2, v1, s[0:1]
.LBB0_64:
	s_nop 0
	s_sendmsg sendmsg(MSG_DEALLOC_VGPRS)
	s_endpgm
.LBB0_65:
	ds_load_b32 v1, v4
	s_or_b32 exec_lo, exec_lo, s2
	s_and_saveexec_b32 s2, vcc_lo
	s_cbranch_execz .LBB0_38
.LBB0_66:
	ds_load_b32 v2, v4 offset:4
	s_or_b32 exec_lo, exec_lo, s2
	v_mov_b32_e32 v3, 0
	s_and_saveexec_b32 s2, vcc_lo
	s_cbranch_execnz .LBB0_39
	s_branch .LBB0_40
	.section	.rodata,"a",@progbits
	.p2align	6, 0x0
	.amdhsa_kernel _Z20RowwiseMomentsKernelIfEvlT_PKS0_PS0_S3_
		.amdhsa_group_segment_fixed_size 768
		.amdhsa_private_segment_fixed_size 0
		.amdhsa_kernarg_size 296
		.amdhsa_user_sgpr_count 15
		.amdhsa_user_sgpr_dispatch_ptr 0
		.amdhsa_user_sgpr_queue_ptr 0
		.amdhsa_user_sgpr_kernarg_segment_ptr 1
		.amdhsa_user_sgpr_dispatch_id 0
		.amdhsa_user_sgpr_private_segment_size 0
		.amdhsa_wavefront_size32 1
		.amdhsa_uses_dynamic_stack 0
		.amdhsa_enable_private_segment 0
		.amdhsa_system_sgpr_workgroup_id_x 1
		.amdhsa_system_sgpr_workgroup_id_y 0
		.amdhsa_system_sgpr_workgroup_id_z 0
		.amdhsa_system_sgpr_workgroup_info 0
		.amdhsa_system_vgpr_workitem_id 0
		.amdhsa_next_free_vgpr 18
		.amdhsa_next_free_sgpr 20
		.amdhsa_reserve_vcc 1
		.amdhsa_float_round_mode_32 0
		.amdhsa_float_round_mode_16_64 0
		.amdhsa_float_denorm_mode_32 3
		.amdhsa_float_denorm_mode_16_64 3
		.amdhsa_dx10_clamp 1
		.amdhsa_ieee_mode 1
		.amdhsa_fp16_overflow 0
		.amdhsa_workgroup_processor_mode 1
		.amdhsa_memory_ordered 1
		.amdhsa_forward_progress 0
		.amdhsa_shared_vgpr_count 0
		.amdhsa_exception_fp_ieee_invalid_op 0
		.amdhsa_exception_fp_denorm_src 0
		.amdhsa_exception_fp_ieee_div_zero 0
		.amdhsa_exception_fp_ieee_overflow 0
		.amdhsa_exception_fp_ieee_underflow 0
		.amdhsa_exception_fp_ieee_inexact 0
		.amdhsa_exception_int_div_zero 0
	.end_amdhsa_kernel
	.section	.text._Z20RowwiseMomentsKernelIfEvlT_PKS0_PS0_S3_,"axG",@progbits,_Z20RowwiseMomentsKernelIfEvlT_PKS0_PS0_S3_,comdat
.Lfunc_end0:
	.size	_Z20RowwiseMomentsKernelIfEvlT_PKS0_PS0_S3_, .Lfunc_end0-_Z20RowwiseMomentsKernelIfEvlT_PKS0_PS0_S3_
                                        ; -- End function
	.section	.AMDGPU.csdata,"",@progbits
; Kernel info:
; codeLenInByte = 3500
; NumSgprs: 22
; NumVgprs: 18
; ScratchSize: 0
; MemoryBound: 0
; FloatMode: 240
; IeeeMode: 1
; LDSByteSize: 768 bytes/workgroup (compile time only)
; SGPRBlocks: 2
; VGPRBlocks: 2
; NumSGPRsForWavesPerEU: 22
; NumVGPRsForWavesPerEU: 18
; Occupancy: 16
; WaveLimiterHint : 0
; COMPUTE_PGM_RSRC2:SCRATCH_EN: 0
; COMPUTE_PGM_RSRC2:USER_SGPR: 15
; COMPUTE_PGM_RSRC2:TRAP_HANDLER: 0
; COMPUTE_PGM_RSRC2:TGID_X_EN: 1
; COMPUTE_PGM_RSRC2:TGID_Y_EN: 0
; COMPUTE_PGM_RSRC2:TGID_Z_EN: 0
; COMPUTE_PGM_RSRC2:TIDIG_COMP_CNT: 0
	.text
	.p2alignl 7, 3214868480
	.fill 96, 4, 3214868480
	.type	__hip_cuid_ecc6a348afe373d2,@object ; @__hip_cuid_ecc6a348afe373d2
	.section	.bss,"aw",@nobits
	.globl	__hip_cuid_ecc6a348afe373d2
__hip_cuid_ecc6a348afe373d2:
	.byte	0                               ; 0x0
	.size	__hip_cuid_ecc6a348afe373d2, 1

	.ident	"AMD clang version 19.0.0git (https://github.com/RadeonOpenCompute/llvm-project roc-6.4.0 25133 c7fe45cf4b819c5991fe208aaa96edf142730f1d)"
	.section	".note.GNU-stack","",@progbits
	.addrsig
	.addrsig_sym __hip_cuid_ecc6a348afe373d2
	.amdgpu_metadata
---
amdhsa.kernels:
  - .args:
      - .offset:         0
        .size:           8
        .value_kind:     by_value
      - .offset:         8
        .size:           4
        .value_kind:     by_value
      - .address_space:  global
        .offset:         16
        .size:           8
        .value_kind:     global_buffer
      - .address_space:  global
        .offset:         24
        .size:           8
        .value_kind:     global_buffer
      - .address_space:  global
        .offset:         32
        .size:           8
        .value_kind:     global_buffer
      - .offset:         40
        .size:           4
        .value_kind:     hidden_block_count_x
      - .offset:         44
        .size:           4
        .value_kind:     hidden_block_count_y
      - .offset:         48
        .size:           4
        .value_kind:     hidden_block_count_z
      - .offset:         52
        .size:           2
        .value_kind:     hidden_group_size_x
      - .offset:         54
        .size:           2
        .value_kind:     hidden_group_size_y
      - .offset:         56
        .size:           2
        .value_kind:     hidden_group_size_z
      - .offset:         58
        .size:           2
        .value_kind:     hidden_remainder_x
      - .offset:         60
        .size:           2
        .value_kind:     hidden_remainder_y
      - .offset:         62
        .size:           2
        .value_kind:     hidden_remainder_z
      - .offset:         80
        .size:           8
        .value_kind:     hidden_global_offset_x
      - .offset:         88
        .size:           8
        .value_kind:     hidden_global_offset_y
      - .offset:         96
        .size:           8
        .value_kind:     hidden_global_offset_z
      - .offset:         104
        .size:           2
        .value_kind:     hidden_grid_dims
    .group_segment_fixed_size: 768
    .kernarg_segment_align: 8
    .kernarg_segment_size: 296
    .language:       OpenCL C
    .language_version:
      - 2
      - 0
    .max_flat_workgroup_size: 1024
    .name:           _Z20RowwiseMomentsKernelIfEvlT_PKS0_PS0_S3_
    .private_segment_fixed_size: 0
    .sgpr_count:     22
    .sgpr_spill_count: 0
    .symbol:         _Z20RowwiseMomentsKernelIfEvlT_PKS0_PS0_S3_.kd
    .uniform_work_group_size: 1
    .uses_dynamic_stack: false
    .vgpr_count:     18
    .vgpr_spill_count: 0
    .wavefront_size: 32
    .workgroup_processor_mode: 1
amdhsa.target:   amdgcn-amd-amdhsa--gfx1100
amdhsa.version:
  - 1
  - 2
...

	.end_amdgpu_metadata
